;; amdgpu-corpus repo=ROCm/rocFFT kind=compiled arch=gfx906 opt=O3
	.text
	.amdgcn_target "amdgcn-amd-amdhsa--gfx906"
	.amdhsa_code_object_version 6
	.protected	fft_rtc_back_len3072_factors_6_4_4_4_4_2_wgs_256_tpt_256_halfLds_sp_op_CI_CI_unitstride_sbrr_C2R_dirReg ; -- Begin function fft_rtc_back_len3072_factors_6_4_4_4_4_2_wgs_256_tpt_256_halfLds_sp_op_CI_CI_unitstride_sbrr_C2R_dirReg
	.globl	fft_rtc_back_len3072_factors_6_4_4_4_4_2_wgs_256_tpt_256_halfLds_sp_op_CI_CI_unitstride_sbrr_C2R_dirReg
	.p2align	8
	.type	fft_rtc_back_len3072_factors_6_4_4_4_4_2_wgs_256_tpt_256_halfLds_sp_op_CI_CI_unitstride_sbrr_C2R_dirReg,@function
fft_rtc_back_len3072_factors_6_4_4_4_4_2_wgs_256_tpt_256_halfLds_sp_op_CI_CI_unitstride_sbrr_C2R_dirReg: ; @fft_rtc_back_len3072_factors_6_4_4_4_4_2_wgs_256_tpt_256_halfLds_sp_op_CI_CI_unitstride_sbrr_C2R_dirReg
; %bb.0:
	s_load_dwordx4 s[12:15], s[4:5], 0x0
	s_load_dwordx4 s[8:11], s[4:5], 0x58
	;; [unrolled: 1-line block ×3, first 2 shown]
	v_mov_b32_e32 v6, 0
	v_mov_b32_e32 v9, 0
	s_waitcnt lgkmcnt(0)
	v_cmp_lt_u64_e64 s[0:1], s[14:15], 2
	v_mov_b32_e32 v11, s6
	v_mov_b32_e32 v12, v6
	s_and_b64 vcc, exec, s[0:1]
	v_mov_b32_e32 v10, 0
	s_cbranch_vccnz .LBB0_8
; %bb.1:
	s_load_dwordx2 s[0:1], s[4:5], 0x10
	s_add_u32 s2, s18, 8
	s_addc_u32 s3, s19, 0
	s_add_u32 s6, s16, 8
	s_addc_u32 s7, s17, 0
	v_mov_b32_e32 v9, 0
	s_waitcnt lgkmcnt(0)
	s_add_u32 s20, s0, 8
	v_mov_b32_e32 v10, 0
	v_mov_b32_e32 v2, v9
	s_addc_u32 s21, s1, 0
	s_mov_b64 s[22:23], 1
	v_mov_b32_e32 v3, v10
.LBB0_2:                                ; =>This Inner Loop Header: Depth=1
	s_load_dwordx2 s[24:25], s[20:21], 0x0
                                        ; implicit-def: $vgpr4_vgpr5
	s_waitcnt lgkmcnt(0)
	v_or_b32_e32 v7, s25, v12
	v_cmp_ne_u64_e32 vcc, 0, v[6:7]
	s_and_saveexec_b64 s[0:1], vcc
	s_xor_b64 s[26:27], exec, s[0:1]
	s_cbranch_execz .LBB0_4
; %bb.3:                                ;   in Loop: Header=BB0_2 Depth=1
	v_cvt_f32_u32_e32 v1, s24
	v_cvt_f32_u32_e32 v4, s25
	s_sub_u32 s0, 0, s24
	s_subb_u32 s1, 0, s25
	v_mac_f32_e32 v1, 0x4f800000, v4
	v_rcp_f32_e32 v1, v1
	v_mul_f32_e32 v1, 0x5f7ffffc, v1
	v_mul_f32_e32 v4, 0x2f800000, v1
	v_trunc_f32_e32 v4, v4
	v_mac_f32_e32 v1, 0xcf800000, v4
	v_cvt_u32_f32_e32 v4, v4
	v_cvt_u32_f32_e32 v1, v1
	v_mul_lo_u32 v5, s0, v4
	v_mul_hi_u32 v7, s0, v1
	v_mul_lo_u32 v13, s1, v1
	v_mul_lo_u32 v8, s0, v1
	v_add_u32_e32 v5, v7, v5
	v_add_u32_e32 v5, v5, v13
	v_mul_hi_u32 v7, v1, v8
	v_mul_lo_u32 v13, v1, v5
	v_mul_hi_u32 v15, v1, v5
	v_mul_hi_u32 v14, v4, v8
	v_mul_lo_u32 v8, v4, v8
	v_mul_hi_u32 v16, v4, v5
	v_add_co_u32_e32 v7, vcc, v7, v13
	v_addc_co_u32_e32 v13, vcc, 0, v15, vcc
	v_mul_lo_u32 v5, v4, v5
	v_add_co_u32_e32 v7, vcc, v7, v8
	v_addc_co_u32_e32 v7, vcc, v13, v14, vcc
	v_addc_co_u32_e32 v8, vcc, 0, v16, vcc
	v_add_co_u32_e32 v5, vcc, v7, v5
	v_addc_co_u32_e32 v7, vcc, 0, v8, vcc
	v_add_co_u32_e32 v1, vcc, v1, v5
	v_addc_co_u32_e32 v4, vcc, v4, v7, vcc
	v_mul_lo_u32 v5, s0, v4
	v_mul_hi_u32 v7, s0, v1
	v_mul_lo_u32 v8, s1, v1
	v_mul_lo_u32 v13, s0, v1
	v_add_u32_e32 v5, v7, v5
	v_add_u32_e32 v5, v5, v8
	v_mul_lo_u32 v14, v1, v5
	v_mul_hi_u32 v15, v1, v13
	v_mul_hi_u32 v16, v1, v5
	;; [unrolled: 1-line block ×3, first 2 shown]
	v_mul_lo_u32 v13, v4, v13
	v_mul_hi_u32 v7, v4, v5
	v_add_co_u32_e32 v14, vcc, v15, v14
	v_addc_co_u32_e32 v15, vcc, 0, v16, vcc
	v_mul_lo_u32 v5, v4, v5
	v_add_co_u32_e32 v13, vcc, v14, v13
	v_addc_co_u32_e32 v8, vcc, v15, v8, vcc
	v_addc_co_u32_e32 v7, vcc, 0, v7, vcc
	v_add_co_u32_e32 v5, vcc, v8, v5
	v_addc_co_u32_e32 v7, vcc, 0, v7, vcc
	v_add_co_u32_e32 v1, vcc, v1, v5
	v_addc_co_u32_e32 v7, vcc, v4, v7, vcc
	v_mad_u64_u32 v[4:5], s[0:1], v11, v7, 0
	v_mul_hi_u32 v8, v11, v1
	v_add_co_u32_e32 v13, vcc, v8, v4
	v_addc_co_u32_e32 v14, vcc, 0, v5, vcc
	v_mad_u64_u32 v[4:5], s[0:1], v12, v1, 0
	v_mad_u64_u32 v[7:8], s[0:1], v12, v7, 0
	v_add_co_u32_e32 v1, vcc, v13, v4
	v_addc_co_u32_e32 v1, vcc, v14, v5, vcc
	v_addc_co_u32_e32 v4, vcc, 0, v8, vcc
	v_add_co_u32_e32 v1, vcc, v1, v7
	v_addc_co_u32_e32 v7, vcc, 0, v4, vcc
	v_mul_lo_u32 v8, s25, v1
	v_mul_lo_u32 v13, s24, v7
	v_mad_u64_u32 v[4:5], s[0:1], s24, v1, 0
	v_add3_u32 v5, v5, v13, v8
	v_sub_u32_e32 v8, v12, v5
	v_mov_b32_e32 v13, s25
	v_sub_co_u32_e32 v4, vcc, v11, v4
	v_subb_co_u32_e64 v8, s[0:1], v8, v13, vcc
	v_subrev_co_u32_e64 v13, s[0:1], s24, v4
	v_subbrev_co_u32_e64 v8, s[0:1], 0, v8, s[0:1]
	v_cmp_le_u32_e64 s[0:1], s25, v8
	v_cndmask_b32_e64 v14, 0, -1, s[0:1]
	v_cmp_le_u32_e64 s[0:1], s24, v13
	v_cndmask_b32_e64 v13, 0, -1, s[0:1]
	v_cmp_eq_u32_e64 s[0:1], s25, v8
	v_cndmask_b32_e64 v8, v14, v13, s[0:1]
	v_add_co_u32_e64 v13, s[0:1], 2, v1
	v_addc_co_u32_e64 v14, s[0:1], 0, v7, s[0:1]
	v_add_co_u32_e64 v15, s[0:1], 1, v1
	v_addc_co_u32_e64 v16, s[0:1], 0, v7, s[0:1]
	v_subb_co_u32_e32 v5, vcc, v12, v5, vcc
	v_cmp_ne_u32_e64 s[0:1], 0, v8
	v_cmp_le_u32_e32 vcc, s25, v5
	v_cndmask_b32_e64 v8, v16, v14, s[0:1]
	v_cndmask_b32_e64 v14, 0, -1, vcc
	v_cmp_le_u32_e32 vcc, s24, v4
	v_cndmask_b32_e64 v4, 0, -1, vcc
	v_cmp_eq_u32_e32 vcc, s25, v5
	v_cndmask_b32_e32 v4, v14, v4, vcc
	v_cmp_ne_u32_e32 vcc, 0, v4
	v_cndmask_b32_e64 v4, v15, v13, s[0:1]
	v_cndmask_b32_e32 v5, v7, v8, vcc
	v_cndmask_b32_e32 v4, v1, v4, vcc
.LBB0_4:                                ;   in Loop: Header=BB0_2 Depth=1
	s_andn2_saveexec_b64 s[0:1], s[26:27]
	s_cbranch_execz .LBB0_6
; %bb.5:                                ;   in Loop: Header=BB0_2 Depth=1
	v_cvt_f32_u32_e32 v1, s24
	s_sub_i32 s26, 0, s24
	v_rcp_iflag_f32_e32 v1, v1
	v_mul_f32_e32 v1, 0x4f7ffffe, v1
	v_cvt_u32_f32_e32 v1, v1
	v_mul_lo_u32 v4, s26, v1
	v_mul_hi_u32 v4, v1, v4
	v_add_u32_e32 v1, v1, v4
	v_mul_hi_u32 v1, v11, v1
	v_mul_lo_u32 v4, v1, s24
	v_add_u32_e32 v5, 1, v1
	v_sub_u32_e32 v4, v11, v4
	v_subrev_u32_e32 v7, s24, v4
	v_cmp_le_u32_e32 vcc, s24, v4
	v_cndmask_b32_e32 v4, v4, v7, vcc
	v_cndmask_b32_e32 v1, v1, v5, vcc
	v_add_u32_e32 v5, 1, v1
	v_cmp_le_u32_e32 vcc, s24, v4
	v_cndmask_b32_e32 v4, v1, v5, vcc
	v_mov_b32_e32 v5, v6
.LBB0_6:                                ;   in Loop: Header=BB0_2 Depth=1
	s_or_b64 exec, exec, s[0:1]
	v_mul_lo_u32 v1, v5, s24
	v_mul_lo_u32 v13, v4, s25
	v_mad_u64_u32 v[7:8], s[0:1], v4, s24, 0
	s_load_dwordx2 s[0:1], s[6:7], 0x0
	s_load_dwordx2 s[24:25], s[2:3], 0x0
	v_add3_u32 v1, v8, v13, v1
	v_sub_co_u32_e32 v7, vcc, v11, v7
	v_subb_co_u32_e32 v1, vcc, v12, v1, vcc
	s_waitcnt lgkmcnt(0)
	v_mul_lo_u32 v8, s0, v1
	v_mul_lo_u32 v11, s1, v7
	v_mad_u64_u32 v[9:10], s[0:1], s0, v7, v[9:10]
	s_add_u32 s22, s22, 1
	s_addc_u32 s23, s23, 0
	s_add_u32 s2, s2, 8
	v_mul_lo_u32 v1, s24, v1
	v_mul_lo_u32 v12, s25, v7
	v_mad_u64_u32 v[2:3], s[0:1], s24, v7, v[2:3]
	v_add3_u32 v10, v11, v10, v8
	s_addc_u32 s3, s3, 0
	v_mov_b32_e32 v7, s14
	s_add_u32 s6, s6, 8
	v_mov_b32_e32 v8, s15
	s_addc_u32 s7, s7, 0
	v_cmp_ge_u64_e32 vcc, s[22:23], v[7:8]
	s_add_u32 s20, s20, 8
	v_add3_u32 v3, v12, v3, v1
	s_addc_u32 s21, s21, 0
	s_cbranch_vccnz .LBB0_9
; %bb.7:                                ;   in Loop: Header=BB0_2 Depth=1
	v_mov_b32_e32 v12, v5
	v_mov_b32_e32 v11, v4
	s_branch .LBB0_2
.LBB0_8:
	v_mov_b32_e32 v2, v9
	v_mov_b32_e32 v4, v11
	;; [unrolled: 1-line block ×4, first 2 shown]
.LBB0_9:
	s_load_dwordx2 s[0:1], s[4:5], 0x28
	s_lshl_b64 s[6:7], s[14:15], 3
	s_add_u32 s2, s18, s6
	s_addc_u32 s3, s19, s7
                                        ; implicit-def: $vgpr6
                                        ; implicit-def: $vgpr11_vgpr12
	s_waitcnt lgkmcnt(0)
	v_cmp_gt_u64_e32 vcc, s[0:1], v[4:5]
	v_cmp_le_u64_e64 s[0:1], s[0:1], v[4:5]
	s_and_saveexec_b64 s[4:5], s[0:1]
	s_xor_b64 s[0:1], exec, s[4:5]
; %bb.10:
	v_mov_b32_e32 v1, 0
	v_mov_b32_e32 v12, v1
	;; [unrolled: 1-line block ×4, first 2 shown]
                                        ; implicit-def: $vgpr9_vgpr10
; %bb.11:
	s_or_saveexec_b64 s[4:5], s[0:1]
	s_load_dwordx2 s[2:3], s[2:3], 0x0
                                        ; implicit-def: $vgpr8
	s_xor_b64 exec, exec, s[4:5]
	s_cbranch_execz .LBB0_15
; %bb.12:
	s_add_u32 s0, s16, s6
	s_addc_u32 s1, s17, s7
	s_load_dwordx2 s[0:1], s[0:1], 0x0
	v_mov_b32_e32 v12, s9
	v_lshlrev_b64 v[8:9], 3, v[9:10]
	v_lshlrev_b32_e32 v41, 3, v0
	v_or_b32_e32 v42, 0x5800, v41
	s_waitcnt lgkmcnt(0)
	v_mul_lo_u32 v1, s1, v4
	v_mul_lo_u32 v11, s0, v5
	v_mad_u64_u32 v[6:7], s[0:1], s0, v4, 0
	v_or_b32_e32 v19, 0x2000, v41
	v_or_b32_e32 v43, 0x1800, v41
	v_add3_u32 v7, v7, v11, v1
	v_lshlrev_b64 v[6:7], 3, v[6:7]
	v_or_b32_e32 v44, 0x3800, v41
	v_add_co_u32_e64 v1, s[0:1], s8, v6
	v_addc_co_u32_e64 v6, s[0:1], v12, v7, s[0:1]
	v_add_co_u32_e64 v1, s[0:1], v1, v8
	v_addc_co_u32_e64 v6, s[0:1], v6, v9, s[0:1]
	;; [unrolled: 2-line block ×3, first 2 shown]
	v_or_b32_e32 v7, 0x1000, v41
	v_add_co_u32_e64 v11, s[0:1], v1, v7
	v_addc_co_u32_e64 v12, s[0:1], 0, v6, s[0:1]
	v_add_co_u32_e64 v7, s[0:1], v1, v42
	v_addc_co_u32_e64 v8, s[0:1], 0, v6, s[0:1]
	global_load_dwordx2 v[13:14], v[9:10], off
	global_load_dwordx2 v[15:16], v[9:10], off offset:2048
	global_load_dwordx2 v[17:18], v[11:12], off
	v_add_co_u32_e64 v9, s[0:1], v1, v19
	v_addc_co_u32_e64 v10, s[0:1], 0, v6, s[0:1]
	v_or_b32_e32 v11, 0x2800, v41
	v_add_co_u32_e64 v11, s[0:1], v1, v11
	v_or_b32_e32 v19, 0x3000, v41
	v_addc_co_u32_e64 v12, s[0:1], 0, v6, s[0:1]
	v_add_co_u32_e64 v19, s[0:1], v1, v19
	v_addc_co_u32_e64 v20, s[0:1], 0, v6, s[0:1]
	global_load_dwordx2 v[21:22], v[11:12], off
	global_load_dwordx2 v[23:24], v[19:20], off
	v_add_co_u32_e64 v11, s[0:1], v1, v43
	v_addc_co_u32_e64 v12, s[0:1], 0, v6, s[0:1]
	global_load_dwordx2 v[19:20], v[9:10], off
	global_load_dwordx2 v[25:26], v[11:12], off
	v_add_co_u32_e64 v9, s[0:1], v1, v44
	v_or_b32_e32 v11, 0x4000, v41
	v_addc_co_u32_e64 v10, s[0:1], 0, v6, s[0:1]
	v_add_co_u32_e64 v11, s[0:1], v1, v11
	v_or_b32_e32 v27, 0x4800, v41
	v_addc_co_u32_e64 v12, s[0:1], 0, v6, s[0:1]
	;; [unrolled: 3-line block ×3, first 2 shown]
	v_add_co_u32_e64 v29, s[0:1], v1, v29
	v_addc_co_u32_e64 v30, s[0:1], 0, v6, s[0:1]
	global_load_dwordx2 v[31:32], v[9:10], off
	global_load_dwordx2 v[33:34], v[11:12], off
	;; [unrolled: 1-line block ×5, first 2 shown]
	v_mov_b32_e32 v1, 0
	v_add_u32_e32 v6, 0, v41
	v_add_u32_e32 v11, 0, v44
	;; [unrolled: 1-line block ×4, first 2 shown]
	s_movk_i32 s0, 0xff
	v_cmp_eq_u32_e64 s[0:1], s0, v0
	s_waitcnt vmcnt(10)
	ds_write2st64_b64 v6, v[13:14], v[15:16] offset1:4
	s_waitcnt vmcnt(6)
	ds_write2st64_b64 v6, v[17:18], v[19:20] offset0:8 offset1:16
	s_waitcnt vmcnt(5)
	ds_write_b64 v10, v[25:26]
	ds_write2st64_b64 v6, v[21:22], v[23:24] offset0:20 offset1:24
	s_waitcnt vmcnt(4)
	ds_write_b64 v11, v[31:32]
	s_waitcnt vmcnt(2)
	ds_write2st64_b64 v6, v[33:34], v[35:36] offset0:32 offset1:36
	s_waitcnt vmcnt(1)
	ds_write_b64 v6, v[37:38] offset:20480
	s_waitcnt vmcnt(0)
	ds_write_b64 v9, v[39:40]
	v_mov_b32_e32 v12, v1
	v_mov_b32_e32 v6, v0
	;; [unrolled: 1-line block ×3, first 2 shown]
	s_and_saveexec_b64 s[6:7], s[0:1]
	s_cbranch_execz .LBB0_14
; %bb.13:
	global_load_dwordx2 v[6:7], v[7:8], off offset:8
	v_mov_b32_e32 v11, 0xff
	v_mov_b32_e32 v12, 0
	s_waitcnt vmcnt(0)
	ds_write_b64 v9, v[6:7] offset:8
	v_mov_b32_e32 v6, 0xff
.LBB0_14:
	s_or_b64 exec, exec, s[6:7]
	v_mov_b32_e32 v8, v6
.LBB0_15:
	s_or_b64 exec, exec, s[4:5]
	v_lshlrev_b32_e32 v7, 3, v6
	v_add_u32_e32 v1, 0, v7
	s_waitcnt lgkmcnt(0)
	s_barrier
	v_sub_u32_e32 v22, 0, v7
	ds_read_b32 v7, v1
	ds_read_b32 v13, v22 offset:24576
	s_add_u32 s4, s12, 0x5fd0
	v_lshlrev_b64 v[9:10], 3, v[11:12]
	s_addc_u32 s5, s13, 0
	v_cmp_ne_u32_e64 s[0:1], 0, v6
	s_waitcnt lgkmcnt(0)
	v_add_f32_e32 v17, v13, v7
	v_sub_f32_e32 v18, v7, v13
	s_and_saveexec_b64 s[6:7], s[0:1]
	s_xor_b64 s[6:7], exec, s[6:7]
	s_cbranch_execz .LBB0_17
; %bb.16:
	v_mov_b32_e32 v12, s5
	v_add_co_u32_e64 v11, s[0:1], s4, v9
	v_addc_co_u32_e64 v12, s[0:1], v12, v10, s[0:1]
	global_load_dwordx2 v[11:12], v[11:12], off
	ds_read_b32 v14, v22 offset:24580
	ds_read_b32 v15, v1 offset:4
	v_add_f32_e32 v16, v13, v7
	v_sub_f32_e32 v7, v7, v13
	s_waitcnt lgkmcnt(0)
	v_add_f32_e32 v19, v14, v15
	v_sub_f32_e32 v14, v15, v14
	s_waitcnt vmcnt(0)
	v_fma_f32 v18, v19, v12, v14
	v_fma_f32 v13, -v7, v12, v16
	v_fma_f32 v14, v19, v12, -v14
	v_fma_f32 v15, v7, v12, v16
	v_fmac_f32_e32 v13, v11, v19
	v_fmac_f32_e32 v14, v7, v11
	v_fma_f32 v17, -v11, v19, v15
	v_fmac_f32_e32 v18, v7, v11
	ds_write_b64 v22, v[13:14] offset:24576
.LBB0_17:
	s_andn2_saveexec_b64 s[0:1], s[6:7]
	s_cbranch_execz .LBB0_19
; %bb.18:
	v_mov_b32_e32 v7, 0
	ds_read_b64 v[11:12], v7 offset:12288
	s_waitcnt lgkmcnt(0)
	v_add_f32_e32 v11, v11, v11
	v_mul_f32_e32 v12, -2.0, v12
	ds_write_b64 v7, v[11:12] offset:12288
.LBB0_19:
	s_or_b64 exec, exec, s[0:1]
	v_mov_b32_e32 v7, 0
	v_lshlrev_b64 v[11:12], 3, v[6:7]
	v_mov_b32_e32 v14, s5
	v_add_co_u32_e64 v13, s[0:1], s4, v11
	v_addc_co_u32_e64 v14, s[0:1], v14, v12, s[0:1]
	global_load_dwordx2 v[23:24], v[13:14], off offset:2048
	v_or_b32_e32 v19, 0x200, v6
	v_mov_b32_e32 v20, v7
	v_lshlrev_b64 v[15:16], 3, v[19:20]
	v_mov_b32_e32 v14, s5
	v_add_co_u32_e64 v13, s[0:1], s4, v15
	v_addc_co_u32_e64 v14, s[0:1], v14, v16, s[0:1]
	global_load_dwordx2 v[25:26], v[13:14], off
	v_mov_b32_e32 v13, 0x1800
	v_lshl_or_b32 v21, v0, 3, v13
	global_load_dwordx2 v[27:28], v21, s[4:5]
	v_or_b32_e32 v13, 0x400, v6
	v_mov_b32_e32 v14, v7
	v_lshlrev_b64 v[13:14], 3, v[13:14]
	v_mov_b32_e32 v20, s5
	v_add_co_u32_e64 v29, s[0:1], s4, v13
	v_addc_co_u32_e64 v30, s[0:1], v20, v14, s[0:1]
	global_load_dwordx2 v[29:30], v[29:30], off
	ds_write_b64 v1, v[17:18]
	v_or_b32_e32 v17, 0x500, v6
	v_mov_b32_e32 v18, v7
	v_lshlrev_b64 v[17:18], 3, v[17:18]
	ds_read_b64 v[31:32], v1 offset:2048
	ds_read_b64 v[33:34], v22 offset:22528
	v_add_co_u32_e64 v35, s[0:1], s4, v17
	v_addc_co_u32_e64 v36, s[0:1], v20, v18, s[0:1]
	global_load_dwordx2 v[35:36], v[35:36], off
	s_waitcnt lgkmcnt(0)
	v_add_f32_e32 v20, v31, v33
	v_add_f32_e32 v37, v34, v32
	v_sub_f32_e32 v38, v31, v33
	v_sub_f32_e32 v33, v32, v34
	s_mov_b32 s0, 0xaaab
	s_movk_i32 s4, 0x3000
	s_movk_i32 s5, 0x2000
	s_waitcnt vmcnt(4)
	v_fma_f32 v39, v38, v24, v20
	v_fma_f32 v34, v37, v24, v33
	v_fma_f32 v31, -v38, v24, v20
	v_fma_f32 v32, v37, v24, -v33
	v_fma_f32 v33, -v23, v37, v39
	v_fmac_f32_e32 v34, v38, v23
	v_fmac_f32_e32 v31, v23, v37
	;; [unrolled: 1-line block ×3, first 2 shown]
	ds_write_b64 v1, v[33:34] offset:2048
	ds_write_b64 v22, v[31:32] offset:22528
	ds_read_b64 v[23:24], v1 offset:4096
	ds_read_b64 v[31:32], v22 offset:20480
	v_add_u32_e32 v20, 0, v21
	s_waitcnt lgkmcnt(0)
	v_add_f32_e32 v33, v23, v31
	v_add_f32_e32 v34, v32, v24
	v_sub_f32_e32 v37, v23, v31
	v_sub_f32_e32 v31, v24, v32
	s_waitcnt vmcnt(3)
	v_fma_f32 v38, v37, v26, v33
	v_fma_f32 v32, v34, v26, v31
	v_fma_f32 v23, -v37, v26, v33
	v_fma_f32 v24, v34, v26, -v31
	v_fma_f32 v31, -v25, v34, v38
	v_fmac_f32_e32 v32, v37, v25
	v_fmac_f32_e32 v23, v25, v34
	v_fmac_f32_e32 v24, v37, v25
	ds_write_b64 v1, v[31:32] offset:4096
	ds_write_b64 v22, v[23:24] offset:20480
	ds_read_b64 v[23:24], v20
	ds_read_b64 v[25:26], v22 offset:18432
	s_waitcnt lgkmcnt(0)
	v_add_f32_e32 v31, v23, v25
	v_add_f32_e32 v32, v26, v24
	v_sub_f32_e32 v33, v23, v25
	v_sub_f32_e32 v25, v24, v26
	s_waitcnt vmcnt(2)
	v_fma_f32 v34, v33, v28, v31
	v_fma_f32 v26, v32, v28, v25
	v_fma_f32 v23, -v33, v28, v31
	v_fma_f32 v24, v32, v28, -v25
	v_fma_f32 v25, -v27, v32, v34
	v_fmac_f32_e32 v26, v33, v27
	v_fmac_f32_e32 v23, v27, v32
	;; [unrolled: 1-line block ×3, first 2 shown]
	ds_write_b64 v20, v[25:26]
	ds_write_b64 v22, v[23:24] offset:18432
	ds_read_b64 v[23:24], v1 offset:8192
	ds_read_b64 v[25:26], v22 offset:16384
	s_waitcnt lgkmcnt(0)
	v_add_f32_e32 v27, v23, v25
	v_add_f32_e32 v28, v26, v24
	v_sub_f32_e32 v31, v23, v25
	v_sub_f32_e32 v25, v24, v26
	s_waitcnt vmcnt(1)
	v_fma_f32 v32, v31, v30, v27
	v_fma_f32 v26, v28, v30, v25
	v_fma_f32 v23, -v31, v30, v27
	v_fma_f32 v24, v28, v30, -v25
	v_fma_f32 v25, -v29, v28, v32
	v_fmac_f32_e32 v26, v31, v29
	v_fmac_f32_e32 v23, v29, v28
	;; [unrolled: 1-line block ×3, first 2 shown]
	ds_write_b64 v1, v[25:26] offset:8192
	ds_write_b64 v22, v[23:24] offset:16384
	ds_read_b64 v[23:24], v1 offset:10240
	ds_read_b64 v[25:26], v22 offset:14336
	s_waitcnt lgkmcnt(0)
	v_add_f32_e32 v27, v23, v25
	v_add_f32_e32 v28, v26, v24
	v_sub_f32_e32 v29, v23, v25
	v_sub_f32_e32 v25, v24, v26
	s_waitcnt vmcnt(0)
	v_fma_f32 v30, v29, v36, v27
	v_fma_f32 v23, -v29, v36, v27
	v_fma_f32 v24, v28, v36, -v25
	v_fma_f32 v26, v28, v36, v25
	v_fma_f32 v25, -v35, v28, v30
	v_fmac_f32_e32 v23, v35, v28
	v_fmac_f32_e32 v26, v29, v35
	;; [unrolled: 1-line block ×3, first 2 shown]
	ds_write_b64 v1, v[25:26] offset:10240
	ds_write_b64 v22, v[23:24] offset:14336
	s_waitcnt lgkmcnt(0)
	s_barrier
	s_barrier
	ds_read2st64_b64 v[22:25], v1 offset1:4
	ds_read2st64_b64 v[26:29], v1 offset0:16 offset1:20
	ds_read2st64_b64 v[30:33], v1 offset0:32 offset1:36
	;; [unrolled: 1-line block ×5, first 2 shown]
	s_waitcnt lgkmcnt(4)
	v_add_f32_e32 v46, v25, v29
	s_waitcnt lgkmcnt(3)
	v_add_f32_e32 v47, v29, v33
	v_fmac_f32_e32 v25, -0.5, v47
	s_waitcnt lgkmcnt(1)
	v_add_f32_e32 v47, v37, v41
	s_waitcnt lgkmcnt(0)
	v_add_f32_e32 v48, v41, v45
	v_fmac_f32_e32 v37, -0.5, v48
	v_add_f32_e32 v48, v40, v44
	v_fma_f32 v48, -0.5, v48, v36
	v_sub_f32_e32 v50, v40, v44
	v_mov_b32_e32 v51, v37
	v_sub_f32_e32 v41, v41, v45
	v_mov_b32_e32 v49, v48
	v_fmac_f32_e32 v51, 0x3f5db3d7, v50
	v_fmac_f32_e32 v49, 0xbf5db3d7, v41
	v_mul_f32_e32 v52, 0xbf5db3d7, v51
	v_mul_f32_e32 v51, 0.5, v51
	v_add_f32_e32 v53, v28, v32
	v_fmac_f32_e32 v52, 0.5, v49
	v_fmac_f32_e32 v51, 0x3f5db3d7, v49
	v_add_f32_e32 v49, v24, v28
	v_fma_f32 v24, -0.5, v53, v24
	v_sub_f32_e32 v53, v29, v33
	v_mov_b32_e32 v54, v24
	v_sub_f32_e32 v55, v28, v32
	v_mov_b32_e32 v56, v25
	v_add_f32_e32 v28, v36, v40
	v_add_f32_e32 v49, v49, v32
	v_fmac_f32_e32 v54, 0xbf5db3d7, v53
	v_add_f32_e32 v46, v46, v33
	v_fmac_f32_e32 v56, 0x3f5db3d7, v55
	v_add_f32_e32 v36, v28, v44
	v_add_f32_e32 v40, v47, v45
	v_mad_u32_u24 v44, v6, 40, v1
	v_add_f32_e32 v28, v49, v36
	v_add_f32_e32 v29, v46, v40
	;; [unrolled: 1-line block ×4, first 2 shown]
	v_add_u32_e32 v45, 0x3000, v44
	v_fmac_f32_e32 v37, 0xbf5db3d7, v50
	s_barrier
	ds_write2_b64 v45, v[28:29], v[32:33] offset1:1
	v_sub_f32_e32 v28, v49, v36
	v_fmac_f32_e32 v48, 0x3f5db3d7, v41
	v_mul_f32_e32 v36, 0xbf5db3d7, v37
	v_mul_f32_e32 v37, -0.5, v37
	v_fmac_f32_e32 v24, 0x3f5db3d7, v53
	v_fmac_f32_e32 v25, 0xbf5db3d7, v55
	v_fmac_f32_e32 v36, -0.5, v48
	v_fmac_f32_e32 v37, 0x3f5db3d7, v48
	v_sub_f32_e32 v29, v46, v40
	v_add_f32_e32 v32, v24, v36
	v_add_f32_e32 v33, v25, v37
	v_add_u32_e32 v40, 0x3010, v44
	ds_write2_b64 v40, v[32:33], v[28:29] offset1:1
	v_add_f32_e32 v28, v22, v26
	v_add_f32_e32 v33, v23, v27
	;; [unrolled: 1-line block ×3, first 2 shown]
	v_sub_f32_e32 v32, v27, v31
	v_add_f32_e32 v27, v27, v31
	v_sub_f32_e32 v40, v26, v30
	v_add_f32_e32 v28, v28, v30
	v_add_f32_e32 v30, v33, v31
	;; [unrolled: 1-line block ×3, first 2 shown]
	v_sub_f32_e32 v33, v39, v43
	v_add_f32_e32 v41, v35, v39
	v_add_f32_e32 v39, v39, v43
	;; [unrolled: 1-line block ×3, first 2 shown]
	v_fma_f32 v31, -0.5, v31, v34
	v_fma_f32 v34, -0.5, v39, v35
	v_sub_f32_e32 v38, v38, v42
	v_mov_b32_e32 v35, v34
	v_add_f32_e32 v42, v26, v42
	v_mov_b32_e32 v26, v31
	v_fmac_f32_e32 v35, 0x3f5db3d7, v38
	v_fma_f32 v29, -0.5, v29, v22
	v_fma_f32 v45, -0.5, v27, v23
	v_add_f32_e32 v41, v41, v43
	v_fmac_f32_e32 v26, 0xbf5db3d7, v33
	v_mul_f32_e32 v39, 0xbf5db3d7, v35
	v_mul_f32_e32 v35, 0.5, v35
	v_mov_b32_e32 v43, v29
	v_mov_b32_e32 v46, v45
	v_fmac_f32_e32 v39, 0.5, v26
	v_fmac_f32_e32 v35, 0x3f5db3d7, v26
	v_fmac_f32_e32 v43, 0xbf5db3d7, v32
	;; [unrolled: 1-line block ×3, first 2 shown]
	v_add_f32_e32 v22, v28, v42
	v_add_f32_e32 v23, v30, v41
	;; [unrolled: 1-line block ×4, first 2 shown]
	v_fmac_f32_e32 v34, 0xbf5db3d7, v38
	ds_write2_b64 v44, v[22:23], v[26:27] offset1:1
	v_sub_f32_e32 v22, v28, v42
	v_sub_f32_e32 v23, v30, v41
	v_fmac_f32_e32 v31, 0x3f5db3d7, v33
	v_mul_f32_e32 v28, 0xbf5db3d7, v34
	v_mul_f32_e32 v30, -0.5, v34
	v_fmac_f32_e32 v29, 0x3f5db3d7, v32
	v_fmac_f32_e32 v45, 0xbf5db3d7, v40
	v_fmac_f32_e32 v28, -0.5, v31
	v_fmac_f32_e32 v30, 0x3f5db3d7, v31
	v_add_f32_e32 v26, v29, v28
	v_add_f32_e32 v27, v45, v30
	ds_write2_b64 v44, v[26:27], v[22:23] offset0:2 offset1:3
	v_sub_f32_e32 v22, v43, v39
	v_sub_f32_e32 v23, v46, v35
	;; [unrolled: 1-line block ×4, first 2 shown]
	ds_write2_b64 v44, v[22:23], v[26:27] offset0:4 offset1:5
	v_sub_f32_e32 v23, v25, v37
	v_sub_f32_e32 v22, v24, v36
	;; [unrolled: 1-line block ×4, first 2 shown]
	v_add_u32_e32 v26, 0x3020, v44
	ds_write2_b64 v26, v[24:25], v[22:23] offset1:1
	v_mul_lo_u16_e32 v24, 0xab, v0
	v_lshrrev_b16_e32 v59, 10, v24
	v_mul_lo_u16_e32 v22, 6, v59
	v_sub_u16_e32 v60, v0, v22
	v_mov_b32_e32 v23, 3
	v_mul_u32_u24_sdwa v22, v60, v23 dst_sel:DWORD dst_unused:UNUSED_PAD src0_sel:BYTE_0 src1_sel:DWORD
	v_lshlrev_b32_e32 v26, 3, v22
	v_or_b32_e32 v22, 0x100, v6
	s_waitcnt lgkmcnt(0)
	s_barrier
	v_mul_u32_u24_sdwa v25, v22, s0 dst_sel:DWORD dst_unused:UNUSED_PAD src0_sel:WORD_0 src1_sel:DWORD
	global_load_dwordx2 v[43:44], v26, s[12:13] offset:16
	v_lshrrev_b32_e32 v61, 18, v25
	v_mul_lo_u16_e32 v27, 6, v61
	v_sub_u16_e32 v62, v22, v27
	v_mul_lo_u16_e32 v27, 3, v62
	v_lshlrev_b32_e32 v39, 3, v27
	global_load_dwordx2 v[45:46], v39, s[12:13] offset:16
	global_load_dwordx4 v[27:30], v26, s[12:13]
	v_mul_u32_u24_sdwa v26, v19, s0 dst_sel:DWORD dst_unused:UNUSED_PAD src0_sel:WORD_0 src1_sel:DWORD
	v_lshrrev_b32_e32 v63, 18, v26
	v_mul_lo_u16_e32 v31, 6, v63
	v_sub_u16_e32 v64, v19, v31
	v_mul_lo_u16_e32 v31, 3, v64
	v_lshlrev_b32_e32 v47, 3, v31
	global_load_dwordx4 v[31:34], v47, s[12:13]
	global_load_dwordx4 v[35:38], v39, s[12:13]
	ds_read2st64_b64 v[39:42], v1 offset0:36 offset1:40
	global_load_dwordx2 v[47:48], v47, s[12:13] offset:16
	ds_read_b64 v[49:50], v1 offset:22528
	s_movk_i32 s0, 0x180
	v_cmp_gt_u32_e64 s[0:1], s0, v22
	s_waitcnt vmcnt(5) lgkmcnt(1)
	v_mul_f32_e32 v51, v44, v40
	v_fmac_f32_e32 v51, v43, v39
	v_mul_f32_e32 v39, v44, v39
	v_fma_f32 v52, v43, v40, -v39
	ds_read_b64 v[43:44], v20
	s_waitcnt vmcnt(4)
	v_mul_f32_e32 v65, v42, v46
	v_mul_f32_e32 v39, v41, v46
	v_fmac_f32_e32 v65, v41, v45
	v_fma_f32 v66, v42, v45, -v39
	ds_read2st64_b64 v[39:42], v1 offset0:20 offset1:24
	s_waitcnt vmcnt(3) lgkmcnt(1)
	v_mul_f32_e32 v53, v28, v44
	v_mul_f32_e32 v28, v28, v43
	v_fmac_f32_e32 v53, v27, v43
	v_fma_f32 v27, v27, v44, -v28
	ds_read2st64_b64 v[43:46], v1 offset1:4
	s_waitcnt lgkmcnt(1)
	v_mul_f32_e32 v28, v30, v42
	v_mul_f32_e32 v30, v30, v41
	v_fmac_f32_e32 v28, v29, v41
	v_fma_f32 v29, v29, v42, -v30
	s_waitcnt lgkmcnt(0)
	v_sub_f32_e32 v28, v43, v28
	v_sub_f32_e32 v29, v44, v29
	;; [unrolled: 1-line block ×4, first 2 shown]
	v_fma_f32 v42, v53, 2.0, -v30
	v_fma_f32 v27, v27, 2.0, -v41
	;; [unrolled: 1-line block ×4, first 2 shown]
	v_sub_f32_e32 v51, v43, v42
	v_sub_f32_e32 v52, v44, v27
	v_add_f32_e32 v55, v28, v41
	v_sub_f32_e32 v56, v29, v30
	v_mul_u32_u24_e32 v27, 24, v59
	v_fma_f32 v53, v43, 2.0, -v51
	v_fma_f32 v54, v44, 2.0, -v52
	;; [unrolled: 1-line block ×4, first 2 shown]
	v_or_b32_sdwa v59, v27, v60 dst_sel:DWORD dst_unused:UNUSED_PAD src0_sel:DWORD src1_sel:BYTE_0
	ds_read2st64_b64 v[27:30], v1 offset0:8 offset1:16
	ds_read2st64_b64 v[41:44], v1 offset0:28 offset1:32
	v_lshl_add_u32 v59, v59, 3, 0
	s_waitcnt vmcnt(0) lgkmcnt(0)
	s_barrier
	ds_write2_b64 v59, v[53:54], v[57:58] offset1:6
	ds_write2_b64 v59, v[51:52], v[55:56] offset0:12 offset1:18
	v_mul_f32_e32 v51, v40, v32
	v_mul_f32_e32 v32, v39, v32
	v_fmac_f32_e32 v51, v39, v31
	v_fma_f32 v39, v40, v31, -v32
	v_mul_f32_e32 v40, v44, v34
	v_mul_f32_e32 v31, v43, v34
	v_fmac_f32_e32 v40, v43, v33
	v_fma_f32 v43, v44, v33, -v31
	v_mul_f32_e32 v33, v36, v30
	v_mul_f32_e32 v31, v38, v42
	;; [unrolled: 1-line block ×3, first 2 shown]
	v_fmac_f32_e32 v33, v35, v29
	v_mul_f32_e32 v29, v36, v29
	v_fmac_f32_e32 v31, v37, v41
	v_fma_f32 v32, v37, v42, -v32
	v_fma_f32 v29, v35, v30, -v29
	v_sub_f32_e32 v35, v45, v31
	v_sub_f32_e32 v36, v46, v32
	;; [unrolled: 1-line block ×4, first 2 shown]
	v_fma_f32 v31, v45, 2.0, -v35
	v_fma_f32 v32, v46, 2.0, -v36
	;; [unrolled: 1-line block ×4, first 2 shown]
	v_sub_f32_e32 v29, v31, v30
	v_sub_f32_e32 v30, v32, v33
	v_add_f32_e32 v33, v35, v37
	v_mul_lo_u16_e32 v37, 24, v61
	v_or_b32_e32 v37, v37, v62
	v_sub_f32_e32 v34, v36, v34
	v_and_b32_e32 v37, 0xffff, v37
	v_fma_f32 v31, v31, 2.0, -v29
	v_fma_f32 v32, v32, 2.0, -v30
	;; [unrolled: 1-line block ×4, first 2 shown]
	v_lshl_add_u32 v37, v37, 3, 0
	ds_write2_b64 v37, v[31:32], v[35:36] offset1:6
	ds_write2_b64 v37, v[29:30], v[33:34] offset0:12 offset1:18
	v_mul_f32_e32 v30, v49, v48
	v_fma_f32 v30, v50, v47, -v30
	v_mul_f32_e32 v29, v50, v48
	v_sub_f32_e32 v34, v28, v43
	v_sub_f32_e32 v36, v39, v30
	v_fmac_f32_e32 v29, v49, v47
	v_fma_f32 v32, v28, 2.0, -v34
	v_fma_f32 v28, v39, 2.0, -v36
	v_sub_f32_e32 v33, v27, v40
	v_sub_f32_e32 v35, v51, v29
	;; [unrolled: 1-line block ×3, first 2 shown]
	v_fma_f32 v31, v27, 2.0, -v33
	v_fma_f32 v27, v51, 2.0, -v35
	;; [unrolled: 1-line block ×3, first 2 shown]
	v_sub_f32_e32 v32, v34, v35
	v_mul_lo_u16_e32 v35, 24, v63
	v_sub_f32_e32 v27, v31, v27
	v_or_b32_e32 v35, v35, v64
	v_fma_f32 v29, v31, 2.0, -v27
	v_add_f32_e32 v31, v33, v36
	v_and_b32_e32 v35, 0xffff, v35
	v_fma_f32 v33, v33, 2.0, -v31
	v_fma_f32 v34, v34, 2.0, -v32
	v_lshl_add_u32 v35, v35, 3, 0
	v_lshrrev_b16_e32 v59, 12, v24
	ds_write2_b64 v35, v[29:30], v[33:34] offset1:6
	ds_write2_b64 v35, v[27:28], v[31:32] offset0:12 offset1:18
	v_mul_lo_u16_e32 v27, 24, v59
	v_sub_u16_e32 v60, v0, v27
	v_mul_u32_u24_sdwa v27, v60, v23 dst_sel:DWORD dst_unused:UNUSED_PAD src0_sel:BYTE_0 src1_sel:DWORD
	v_lshlrev_b32_e32 v31, 3, v27
	s_waitcnt lgkmcnt(0)
	s_barrier
	global_load_dwordx2 v[43:44], v31, s[12:13] offset:160
	v_lshrrev_b32_e32 v61, 20, v25
	v_mul_lo_u16_e32 v27, 24, v61
	v_sub_u16_e32 v62, v22, v27
	v_mul_lo_u16_e32 v27, 3, v62
	v_lshlrev_b32_e32 v39, 3, v27
	global_load_dwordx2 v[45:46], v39, s[12:13] offset:160
	global_load_dwordx4 v[27:30], v31, s[12:13] offset:144
	v_lshrrev_b32_e32 v63, 20, v26
	v_mul_lo_u16_e32 v31, 24, v63
	v_sub_u16_e32 v64, v19, v31
	v_mul_lo_u16_e32 v31, 3, v64
	v_lshlrev_b32_e32 v47, 3, v31
	global_load_dwordx4 v[31:34], v47, s[12:13] offset:144
	global_load_dwordx4 v[35:38], v39, s[12:13] offset:144
	ds_read2st64_b64 v[39:42], v1 offset0:36 offset1:40
	global_load_dwordx2 v[47:48], v47, s[12:13] offset:160
	ds_read_b64 v[49:50], v1 offset:22528
	s_waitcnt vmcnt(5) lgkmcnt(1)
	v_mul_f32_e32 v51, v44, v40
	v_fmac_f32_e32 v51, v43, v39
	v_mul_f32_e32 v39, v44, v39
	v_fma_f32 v52, v43, v40, -v39
	ds_read_b64 v[43:44], v20
	s_waitcnt vmcnt(4)
	v_mul_f32_e32 v65, v42, v46
	v_mul_f32_e32 v39, v41, v46
	v_fmac_f32_e32 v65, v41, v45
	v_fma_f32 v66, v42, v45, -v39
	ds_read2st64_b64 v[39:42], v1 offset0:20 offset1:24
	s_waitcnt vmcnt(3) lgkmcnt(1)
	v_mul_f32_e32 v53, v28, v44
	v_mul_f32_e32 v28, v28, v43
	v_fmac_f32_e32 v53, v27, v43
	v_fma_f32 v27, v27, v44, -v28
	ds_read2st64_b64 v[43:46], v1 offset1:4
	s_waitcnt lgkmcnt(1)
	v_mul_f32_e32 v28, v30, v42
	v_mul_f32_e32 v30, v30, v41
	v_fmac_f32_e32 v28, v29, v41
	v_fma_f32 v29, v29, v42, -v30
	s_waitcnt lgkmcnt(0)
	v_sub_f32_e32 v28, v43, v28
	v_sub_f32_e32 v29, v44, v29
	;; [unrolled: 1-line block ×4, first 2 shown]
	v_fma_f32 v42, v53, 2.0, -v30
	v_fma_f32 v27, v27, 2.0, -v41
	;; [unrolled: 1-line block ×4, first 2 shown]
	v_sub_f32_e32 v51, v43, v42
	v_sub_f32_e32 v52, v44, v27
	v_add_f32_e32 v55, v28, v41
	v_sub_f32_e32 v56, v29, v30
	v_mul_u32_u24_e32 v27, 0x60, v59
	v_fma_f32 v53, v43, 2.0, -v51
	v_fma_f32 v54, v44, 2.0, -v52
	v_fma_f32 v57, v28, 2.0, -v55
	v_fma_f32 v58, v29, 2.0, -v56
	v_or_b32_sdwa v59, v27, v60 dst_sel:DWORD dst_unused:UNUSED_PAD src0_sel:DWORD src1_sel:BYTE_0
	ds_read2st64_b64 v[27:30], v1 offset0:8 offset1:16
	ds_read2st64_b64 v[41:44], v1 offset0:28 offset1:32
	v_lshl_add_u32 v59, v59, 3, 0
	s_waitcnt vmcnt(0) lgkmcnt(0)
	s_barrier
	ds_write2_b64 v59, v[53:54], v[57:58] offset1:24
	ds_write2_b64 v59, v[51:52], v[55:56] offset0:48 offset1:72
	v_mul_f32_e32 v51, v40, v32
	v_mul_f32_e32 v32, v39, v32
	v_fmac_f32_e32 v51, v39, v31
	v_fma_f32 v39, v40, v31, -v32
	v_mul_f32_e32 v40, v44, v34
	v_mul_f32_e32 v31, v43, v34
	v_fmac_f32_e32 v40, v43, v33
	v_fma_f32 v43, v44, v33, -v31
	v_mul_f32_e32 v33, v36, v30
	v_mul_f32_e32 v31, v38, v42
	;; [unrolled: 1-line block ×3, first 2 shown]
	v_fmac_f32_e32 v33, v35, v29
	v_mul_f32_e32 v29, v36, v29
	v_fmac_f32_e32 v31, v37, v41
	v_fma_f32 v32, v37, v42, -v32
	v_fma_f32 v29, v35, v30, -v29
	v_sub_f32_e32 v35, v45, v31
	v_sub_f32_e32 v36, v46, v32
	;; [unrolled: 1-line block ×4, first 2 shown]
	v_fma_f32 v31, v45, 2.0, -v35
	v_fma_f32 v32, v46, 2.0, -v36
	;; [unrolled: 1-line block ×4, first 2 shown]
	v_sub_f32_e32 v29, v31, v30
	v_sub_f32_e32 v30, v32, v33
	v_add_f32_e32 v33, v35, v37
	v_mul_lo_u16_e32 v37, 0x60, v61
	v_or_b32_e32 v37, v37, v62
	v_sub_f32_e32 v34, v36, v34
	v_and_b32_e32 v37, 0xffff, v37
	v_fma_f32 v31, v31, 2.0, -v29
	v_fma_f32 v32, v32, 2.0, -v30
	;; [unrolled: 1-line block ×4, first 2 shown]
	v_lshl_add_u32 v37, v37, 3, 0
	ds_write2_b64 v37, v[31:32], v[35:36] offset1:24
	ds_write2_b64 v37, v[29:30], v[33:34] offset0:48 offset1:72
	v_mul_f32_e32 v30, v49, v48
	v_fma_f32 v30, v50, v47, -v30
	v_mul_f32_e32 v29, v50, v48
	v_sub_f32_e32 v34, v28, v43
	v_sub_f32_e32 v36, v39, v30
	v_fmac_f32_e32 v29, v49, v47
	v_fma_f32 v32, v28, 2.0, -v34
	v_fma_f32 v28, v39, 2.0, -v36
	v_sub_f32_e32 v33, v27, v40
	v_sub_f32_e32 v35, v51, v29
	;; [unrolled: 1-line block ×3, first 2 shown]
	v_lshrrev_b16_e32 v55, 14, v24
	v_fma_f32 v31, v27, 2.0, -v33
	v_fma_f32 v27, v51, 2.0, -v35
	;; [unrolled: 1-line block ×3, first 2 shown]
	v_sub_f32_e32 v32, v34, v35
	v_mul_lo_u16_e32 v35, 0x60, v63
	v_mul_lo_u16_e32 v24, 0x60, v55
	v_sub_f32_e32 v27, v31, v27
	v_or_b32_e32 v35, v35, v64
	v_sub_u16_e32 v0, v0, v24
	v_fma_f32 v29, v31, 2.0, -v27
	v_add_f32_e32 v31, v33, v36
	v_and_b32_e32 v35, 0xffff, v35
	v_mul_u32_u24_sdwa v23, v0, v23 dst_sel:DWORD dst_unused:UNUSED_PAD src0_sel:BYTE_0 src1_sel:DWORD
	v_fma_f32 v33, v33, 2.0, -v31
	v_fma_f32 v34, v34, 2.0, -v32
	v_lshl_add_u32 v35, v35, 3, 0
	v_lshlrev_b32_e32 v23, 3, v23
	ds_write2_b64 v35, v[29:30], v[33:34] offset1:24
	ds_write2_b64 v35, v[27:28], v[31:32] offset0:48 offset1:72
	s_waitcnt lgkmcnt(0)
	s_barrier
	global_load_dwordx2 v[39:40], v23, s[12:13] offset:736
	v_lshrrev_b32_e32 v56, 22, v25
	v_mul_lo_u16_e32 v24, 0x60, v56
	v_sub_u16_e32 v57, v22, v24
	v_mul_lo_u16_e32 v24, 3, v57
	v_lshlrev_b32_e32 v35, 3, v24
	global_load_dwordx2 v[41:42], v35, s[12:13] offset:736
	global_load_dwordx4 v[27:30], v23, s[12:13] offset:720
	v_lshrrev_b32_e32 v58, 22, v26
	v_mul_lo_u16_e32 v23, 0x60, v58
	v_sub_u16_e32 v19, v19, v23
	v_mul_lo_u16_e32 v23, 3, v19
	v_lshlrev_b32_e32 v43, 3, v23
	global_load_dwordx4 v[23:26], v43, s[12:13] offset:720
	global_load_dwordx4 v[31:34], v35, s[12:13] offset:720
	ds_read2st64_b64 v[35:38], v1 offset0:36 offset1:40
	global_load_dwordx2 v[43:44], v43, s[12:13] offset:736
	s_waitcnt vmcnt(5) lgkmcnt(0)
	v_mul_f32_e32 v47, v40, v36
	v_fmac_f32_e32 v47, v39, v35
	v_mul_f32_e32 v35, v40, v35
	v_fma_f32 v48, v39, v36, -v35
	ds_read_b64 v[39:40], v20
	s_waitcnt vmcnt(4)
	v_mul_f32_e32 v59, v38, v42
	v_mul_f32_e32 v35, v37, v42
	v_fmac_f32_e32 v59, v37, v41
	v_fma_f32 v60, v38, v41, -v35
	ds_read2st64_b64 v[35:38], v1 offset0:20 offset1:24
	ds_read_b64 v[45:46], v1 offset:22528
	s_waitcnt vmcnt(3) lgkmcnt(2)
	v_mul_f32_e32 v49, v28, v40
	v_mul_f32_e32 v28, v28, v39
	v_fmac_f32_e32 v49, v27, v39
	v_fma_f32 v27, v27, v40, -v28
	ds_read2st64_b64 v[39:42], v1 offset1:4
	s_waitcnt lgkmcnt(2)
	v_mul_f32_e32 v28, v30, v38
	v_mul_f32_e32 v30, v30, v37
	v_fmac_f32_e32 v28, v29, v37
	v_fma_f32 v29, v29, v38, -v30
	s_waitcnt lgkmcnt(0)
	v_sub_f32_e32 v28, v39, v28
	v_sub_f32_e32 v29, v40, v29
	;; [unrolled: 1-line block ×4, first 2 shown]
	v_fma_f32 v38, v49, 2.0, -v30
	v_fma_f32 v27, v27, 2.0, -v37
	;; [unrolled: 1-line block ×4, first 2 shown]
	v_sub_f32_e32 v47, v39, v38
	v_sub_f32_e32 v48, v40, v27
	v_add_f32_e32 v51, v28, v37
	v_sub_f32_e32 v52, v29, v30
	v_mul_u32_u24_e32 v27, 0x180, v55
	v_fma_f32 v49, v39, 2.0, -v47
	v_fma_f32 v50, v40, 2.0, -v48
	;; [unrolled: 1-line block ×4, first 2 shown]
	v_or_b32_sdwa v0, v27, v0 dst_sel:DWORD dst_unused:UNUSED_PAD src0_sel:DWORD src1_sel:BYTE_0
	ds_read2st64_b64 v[27:30], v1 offset0:8 offset1:16
	ds_read2st64_b64 v[37:40], v1 offset0:28 offset1:32
	v_lshl_add_u32 v0, v0, 3, 0
	s_waitcnt vmcnt(0) lgkmcnt(0)
	s_barrier
	ds_write2_b64 v0, v[49:50], v[53:54] offset1:96
	v_add_u32_e32 v0, 0x400, v0
	ds_write2_b64 v0, v[47:48], v[51:52] offset0:64 offset1:160
	v_mul_f32_e32 v0, v36, v24
	v_mul_f32_e32 v24, v35, v24
	v_fmac_f32_e32 v0, v35, v23
	v_fma_f32 v35, v36, v23, -v24
	v_mul_f32_e32 v36, v40, v26
	v_mul_f32_e32 v23, v39, v26
	;; [unrolled: 1-line block ×4, first 2 shown]
	v_fma_f32 v24, v33, v38, -v24
	v_fma_f32 v26, v31, v30, -v26
	v_fmac_f32_e32 v36, v39, v25
	v_fma_f32 v39, v40, v25, -v23
	v_mul_f32_e32 v23, v34, v38
	v_mul_f32_e32 v25, v32, v30
	v_sub_f32_e32 v32, v42, v24
	v_sub_f32_e32 v34, v26, v60
	v_fmac_f32_e32 v23, v33, v37
	v_fmac_f32_e32 v25, v31, v29
	v_fma_f32 v30, v42, 2.0, -v32
	v_fma_f32 v24, v26, 2.0, -v34
	v_sub_f32_e32 v31, v41, v23
	v_sub_f32_e32 v33, v25, v59
	;; [unrolled: 1-line block ×3, first 2 shown]
	v_fma_f32 v29, v41, 2.0, -v31
	v_fma_f32 v23, v25, 2.0, -v33
	;; [unrolled: 1-line block ×3, first 2 shown]
	v_sub_f32_e32 v30, v32, v33
	v_mul_lo_u16_e32 v33, 0x180, v56
	v_sub_f32_e32 v23, v29, v23
	v_or_b32_e32 v33, v33, v57
	v_fma_f32 v25, v29, 2.0, -v23
	v_add_f32_e32 v29, v31, v34
	v_and_b32_e32 v33, 0xffff, v33
	v_fma_f32 v31, v31, 2.0, -v29
	v_fma_f32 v32, v32, 2.0, -v30
	v_lshl_add_u32 v33, v33, 3, 0
	ds_write2_b64 v33, v[25:26], v[31:32] offset1:96
	v_add_u32_e32 v25, 0x400, v33
	ds_write2_b64 v25, v[23:24], v[29:30] offset0:64 offset1:160
	v_mul_f32_e32 v23, v46, v44
	v_fmac_f32_e32 v23, v45, v43
	v_sub_f32_e32 v30, v28, v39
	v_mul_f32_e32 v24, v45, v44
	v_sub_f32_e32 v29, v27, v36
	v_fma_f32 v26, v28, 2.0, -v30
	v_sub_f32_e32 v28, v0, v23
	v_fma_f32 v24, v46, v43, -v24
	v_fma_f32 v25, v27, 2.0, -v29
	v_fma_f32 v0, v0, 2.0, -v28
	v_sub_f32_e32 v27, v35, v24
	v_sub_f32_e32 v23, v25, v0
	v_mul_lo_u16_e32 v0, 0x180, v58
	v_fma_f32 v24, v35, 2.0, -v27
	v_or_b32_e32 v0, v0, v19
	v_sub_f32_e32 v24, v26, v24
	v_add_f32_e32 v27, v29, v27
	v_sub_f32_e32 v28, v30, v28
	v_and_b32_e32 v0, 0xffff, v0
	v_fma_f32 v25, v25, 2.0, -v23
	v_fma_f32 v26, v26, 2.0, -v24
	v_fma_f32 v29, v29, 2.0, -v27
	v_fma_f32 v30, v30, 2.0, -v28
	v_lshl_add_u32 v0, v0, 3, 0
	ds_write2_b64 v0, v[25:26], v[29:30] offset1:96
	v_add_u32_e32 v0, 0x400, v0
	ds_write2_b64 v0, v[23:24], v[27:28] offset0:64 offset1:160
	v_mul_u32_u24_e32 v0, 3, v6
	v_lshlrev_b32_e32 v0, 3, v0
	s_waitcnt lgkmcnt(0)
	s_barrier
	global_load_dwordx2 v[39:40], v0, s[12:13] offset:3040
	v_add_u32_e32 v6, 0xffffff80, v6
	v_cndmask_b32_e64 v19, v6, v22, s[0:1]
	v_mul_i32_i24_e32 v6, 3, v19
	v_lshlrev_b64 v[23:24], 3, v[6:7]
	v_mov_b32_e32 v45, s13
	v_add_co_u32_e64 v35, s[0:1], s12, v23
	v_addc_co_u32_e64 v36, s[0:1], v45, v24, s[0:1]
	global_load_dwordx2 v[41:42], v[35:36], off offset:3040
	global_load_dwordx4 v[23:26], v0, s[12:13] offset:3024
	v_add_co_u32_e64 v0, s[0:1], s12, v0
	v_addc_co_u32_e64 v6, s[0:1], 0, v45, s[0:1]
	s_movk_i32 s0, 0x1000
	v_add_co_u32_e64 v37, s[0:1], s0, v0
	v_addc_co_u32_e64 v38, s[0:1], 0, v6, s[0:1]
	global_load_dwordx4 v[27:30], v[37:38], off offset:2000
	global_load_dwordx4 v[31:34], v[35:36], off offset:3024
	ds_read2st64_b64 v[35:38], v1 offset0:36 offset1:40
	s_movk_i32 s0, 0x17d0
	ds_read_b64 v[43:44], v20
	s_waitcnt vmcnt(4) lgkmcnt(1)
	v_mul_f32_e32 v46, v40, v36
	v_fmac_f32_e32 v46, v39, v35
	v_mul_f32_e32 v35, v40, v35
	v_fma_f32 v47, v39, v36, -v35
	v_add_co_u32_e64 v35, s[0:1], s0, v0
	v_addc_co_u32_e64 v36, s[0:1], 0, v6, s[0:1]
	global_load_dwordx2 v[39:40], v[35:36], off offset:16
	s_waitcnt vmcnt(4)
	v_mul_f32_e32 v0, v38, v42
	v_mul_f32_e32 v6, v37, v42
	v_fmac_f32_e32 v0, v37, v41
	v_fma_f32 v6, v38, v41, -v6
	ds_read_b64 v[41:42], v1 offset:22528
	ds_read2st64_b64 v[35:38], v1 offset0:20 offset1:24
	s_waitcnt vmcnt(3) lgkmcnt(2)
	v_mul_f32_e32 v48, v24, v44
	v_mul_f32_e32 v24, v24, v43
	v_fmac_f32_e32 v48, v23, v43
	v_fma_f32 v43, v23, v44, -v24
	s_waitcnt lgkmcnt(0)
	v_mul_f32_e32 v44, v26, v38
	v_mul_f32_e32 v23, v26, v37
	v_fmac_f32_e32 v44, v25, v37
	v_fma_f32 v37, v25, v38, -v23
	ds_read2st64_b64 v[23:26], v1 offset0:28 offset1:32
	s_waitcnt vmcnt(2)
	v_mul_f32_e32 v38, v36, v28
	v_mul_f32_e32 v28, v35, v28
	v_fmac_f32_e32 v38, v35, v27
	v_fma_f32 v49, v36, v27, -v28
	s_waitcnt lgkmcnt(0)
	v_mul_f32_e32 v50, v26, v30
	v_fmac_f32_e32 v50, v25, v29
	v_mul_f32_e32 v25, v25, v30
	s_waitcnt vmcnt(1)
	v_mul_f32_e32 v52, v34, v24
	v_fma_f32 v51, v26, v29, -v25
	ds_read2st64_b64 v[25:28], v1 offset0:8 offset1:16
	v_fmac_f32_e32 v52, v33, v23
	v_mul_f32_e32 v23, v34, v23
	v_fma_f32 v53, v33, v24, -v23
	ds_read2st64_b64 v[33:36], v1 offset1:4
	s_waitcnt lgkmcnt(1)
	v_mul_f32_e32 v54, v32, v28
	v_mul_f32_e32 v23, v32, v27
	v_fmac_f32_e32 v54, v31, v27
	v_fma_f32 v55, v31, v28, -v23
	s_waitcnt lgkmcnt(0)
	v_sub_f32_e32 v31, v33, v44
	v_sub_f32_e32 v32, v34, v37
	;; [unrolled: 1-line block ×4, first 2 shown]
	v_fma_f32 v23, v48, 2.0, -v30
	v_fma_f32 v24, v43, 2.0, -v29
	;; [unrolled: 1-line block ×4, first 2 shown]
	v_sub_f32_e32 v23, v27, v23
	v_sub_f32_e32 v24, v28, v24
	v_add_f32_e32 v29, v31, v29
	v_sub_f32_e32 v30, v32, v30
	v_fma_f32 v27, v27, 2.0, -v23
	v_fma_f32 v28, v28, 2.0, -v24
	;; [unrolled: 1-line block ×4, first 2 shown]
	s_waitcnt vmcnt(0)
	s_barrier
	ds_write2st64_b64 v1, v[27:28], v[31:32] offset1:6
	ds_write2st64_b64 v1, v[23:24], v[29:30] offset0:12 offset1:18
	v_sub_f32_e32 v32, v36, v53
	v_sub_f32_e32 v0, v54, v0
	s_movk_i32 s0, 0x17f
	v_sub_f32_e32 v31, v35, v52
	v_sub_f32_e32 v6, v55, v6
	v_fma_f32 v23, v54, 2.0, -v0
	v_sub_f32_e32 v30, v32, v0
	v_mov_b32_e32 v0, 0x600
	v_cmp_lt_u32_e64 s[0:1], s0, v22
	v_fma_f32 v27, v35, 2.0, -v31
	v_fma_f32 v28, v36, 2.0, -v32
	;; [unrolled: 1-line block ×3, first 2 shown]
	v_cndmask_b32_e64 v0, 0, v0, s[0:1]
	v_sub_f32_e32 v23, v27, v23
	v_sub_f32_e32 v24, v28, v24
	v_add_f32_e32 v29, v31, v6
	v_or_b32_e32 v0, v0, v19
	v_fma_f32 v27, v27, 2.0, -v23
	v_fma_f32 v28, v28, 2.0, -v24
	;; [unrolled: 1-line block ×4, first 2 shown]
	v_lshl_add_u32 v0, v0, 3, 0
	ds_write2st64_b64 v0, v[27:28], v[31:32] offset1:6
	ds_write2st64_b64 v0, v[23:24], v[29:30] offset0:12 offset1:18
	v_sub_f32_e32 v29, v26, v51
	v_sub_f32_e32 v19, v25, v50
	v_fma_f32 v24, v25, 2.0, -v19
	v_fma_f32 v25, v26, 2.0, -v29
	v_mul_f32_e32 v0, v42, v40
	v_fmac_f32_e32 v0, v41, v39
	v_mul_f32_e32 v6, v41, v40
	v_fma_f32 v6, v42, v39, -v6
	v_sub_f32_e32 v0, v38, v0
	v_sub_f32_e32 v6, v49, v6
	v_fma_f32 v22, v38, 2.0, -v0
	v_sub_f32_e32 v27, v29, v0
	v_add_co_u32_e64 v0, s[0:1], s12, v11
	v_fma_f32 v23, v49, 2.0, -v6
	v_add_f32_e32 v26, v19, v6
	v_addc_co_u32_e64 v6, s[0:1], v45, v12, s[0:1]
	v_add_co_u32_e64 v11, s[0:1], s4, v0
	v_addc_co_u32_e64 v12, s[0:1], 0, v6, s[0:1]
	v_add_co_u32_e64 v0, s[0:1], s12, v15
	;; [unrolled: 2-line block ×4, first 2 shown]
	v_addc_co_u32_e64 v6, s[0:1], 0, v45, s[0:1]
	v_sub_f32_e32 v22, v24, v22
	v_sub_f32_e32 v23, v25, v23
	v_add_co_u32_e64 v21, s[0:1], s5, v0
	v_fma_f32 v24, v24, 2.0, -v22
	ds_write2st64_b64 v1, v[22:23], v[26:27] offset0:38 offset1:44
	v_addc_co_u32_e64 v22, s[0:1], 0, v6, s[0:1]
	v_add_co_u32_e64 v0, s[0:1], s12, v13
	v_fma_f32 v25, v25, 2.0, -v23
	v_fma_f32 v28, v19, 2.0, -v26
	;; [unrolled: 1-line block ×3, first 2 shown]
	v_addc_co_u32_e64 v6, s[0:1], v45, v14, s[0:1]
	ds_write2st64_b64 v1, v[24:25], v[28:29] offset0:26 offset1:32
	s_waitcnt lgkmcnt(0)
	s_barrier
	global_load_dwordx2 v[23:24], v[11:12], off offset:2000
	global_load_dwordx2 v[25:26], v[15:16], off offset:4048
	;; [unrolled: 1-line block ×3, first 2 shown]
	v_add_co_u32_e64 v11, s[0:1], s5, v0
	v_addc_co_u32_e64 v12, s[0:1], 0, v6, s[0:1]
	v_add_co_u32_e64 v0, s[0:1], s12, v17
	v_addc_co_u32_e64 v6, s[0:1], v45, v18, s[0:1]
	global_load_dwordx2 v[17:18], v[11:12], off offset:4048
	v_add_co_u32_e64 v11, s[0:1], s5, v0
	v_addc_co_u32_e64 v12, s[0:1], 0, v6, s[0:1]
	global_load_dwordx2 v[21:22], v[11:12], off offset:4048
	v_add_co_u32_e64 v0, s[0:1], s12, v9
	v_addc_co_u32_e64 v6, s[0:1], v45, v10, s[0:1]
	v_add_co_u32_e64 v9, s[0:1], s5, v0
	v_addc_co_u32_e64 v10, s[0:1], 0, v6, s[0:1]
	global_load_dwordx2 v[29:30], v[9:10], off offset:4048
	ds_read2st64_b64 v[9:12], v1 offset0:28 offset1:32
	ds_read2st64_b64 v[13:16], v1 offset0:36 offset1:40
	s_waitcnt vmcnt(5) lgkmcnt(1)
	v_mul_f32_e32 v0, v24, v10
	v_fmac_f32_e32 v0, v23, v9
	v_mul_f32_e32 v6, v24, v9
	s_waitcnt vmcnt(4)
	v_mul_f32_e32 v9, v26, v11
	v_fma_f32 v31, v25, v12, -v9
	s_waitcnt vmcnt(3) lgkmcnt(0)
	v_mul_f32_e32 v33, v28, v14
	v_mul_f32_e32 v9, v28, v13
	v_fmac_f32_e32 v33, v27, v13
	v_fma_f32 v34, v27, v14, -v9
	ds_read_b64 v[13:14], v1 offset:22528
	v_mul_f32_e32 v19, v26, v12
	s_waitcnt vmcnt(2)
	v_mul_f32_e32 v32, v18, v16
	v_mul_f32_e32 v9, v18, v15
	v_fma_f32 v6, v23, v10, -v6
	v_fmac_f32_e32 v19, v25, v11
	v_fmac_f32_e32 v32, v17, v15
	v_fma_f32 v35, v17, v16, -v9
	ds_read_b64 v[17:18], v20
	s_waitcnt vmcnt(1) lgkmcnt(1)
	v_mul_f32_e32 v36, v14, v22
	ds_read2st64_b64 v[9:12], v1 offset0:20 offset1:24
	v_fmac_f32_e32 v36, v13, v21
	v_mul_f32_e32 v13, v13, v22
	v_fma_f32 v37, v14, v21, -v13
	ds_read2st64_b64 v[13:16], v1 offset1:4
	s_waitcnt vmcnt(0) lgkmcnt(1)
	v_mul_f32_e32 v21, v30, v12
	v_fmac_f32_e32 v21, v29, v11
	v_mul_f32_e32 v11, v30, v11
	v_fma_f32 v12, v29, v12, -v11
	s_waitcnt lgkmcnt(0)
	v_sub_f32_e32 v11, v13, v21
	ds_read2st64_b64 v[21:24], v1 offset0:8 offset1:16
	v_sub_f32_e32 v12, v14, v12
	v_sub_f32_e32 v25, v15, v0
	v_sub_f32_e32 v26, v16, v6
	v_fma_f32 v13, v13, 2.0, -v11
	v_fma_f32 v14, v14, 2.0, -v12
	;; [unrolled: 1-line block ×4, first 2 shown]
	s_waitcnt lgkmcnt(0)
	v_sub_f32_e32 v27, v21, v19
	v_sub_f32_e32 v28, v22, v31
	;; [unrolled: 1-line block ×4, first 2 shown]
	v_fma_f32 v21, v21, 2.0, -v27
	v_fma_f32 v22, v22, 2.0, -v28
	v_sub_f32_e32 v31, v9, v36
	v_sub_f32_e32 v32, v10, v37
	s_barrier
	ds_write2st64_b64 v1, v[13:14], v[15:16] offset1:4
	ds_write2st64_b64 v1, v[11:12], v[25:26] offset0:24 offset1:28
	v_sub_f32_e32 v11, v17, v33
	v_sub_f32_e32 v12, v18, v34
	v_fma_f32 v23, v23, 2.0, -v29
	v_fma_f32 v24, v24, 2.0, -v30
	;; [unrolled: 1-line block ×6, first 2 shown]
	ds_write_b64 v1, v[21:22] offset:4096
	ds_write_b64 v1, v[27:28] offset:16384
	ds_write2st64_b64 v20, v[13:14], v[11:12] offset1:24
	ds_write2st64_b64 v1, v[23:24], v[9:10] offset0:16 offset1:20
	ds_write2st64_b64 v1, v[29:30], v[31:32] offset0:40 offset1:44
	s_waitcnt lgkmcnt(0)
	s_barrier
	s_and_saveexec_b64 s[0:1], vcc
	s_cbranch_execz .LBB0_21
; %bb.20:
	v_mul_lo_u32 v6, s3, v4
	v_mul_lo_u32 v5, s2, v5
	v_mad_u64_u32 v[0:1], s[0:1], s2, v4, 0
	v_mov_b32_e32 v4, s11
	v_lshl_add_u32 v14, v8, 3, 0
	v_add3_u32 v1, v1, v5, v6
	v_lshlrev_b64 v[0:1], 3, v[0:1]
	v_mov_b32_e32 v9, v7
	v_add_co_u32_e32 v5, vcc, s10, v0
	v_addc_co_u32_e32 v4, vcc, v4, v1, vcc
	v_lshlrev_b64 v[0:1], 3, v[2:3]
	ds_read2st64_b64 v[10:13], v14 offset1:4
	v_add_co_u32_e32 v15, vcc, v5, v0
	v_addc_co_u32_e32 v16, vcc, v4, v1, vcc
	v_lshlrev_b64 v[0:1], 3, v[8:9]
	v_add_u32_e32 v6, 0x100, v8
	v_add_co_u32_e32 v0, vcc, v15, v0
	v_addc_co_u32_e32 v1, vcc, v16, v1, vcc
	s_waitcnt lgkmcnt(0)
	global_store_dwordx2 v[0:1], v[10:11], off
	v_lshlrev_b64 v[0:1], 3, v[6:7]
	v_add_u32_e32 v6, 0x200, v8
	v_add_co_u32_e32 v0, vcc, v15, v0
	v_addc_co_u32_e32 v1, vcc, v16, v1, vcc
	global_store_dwordx2 v[0:1], v[12:13], off
	ds_read2st64_b64 v[0:3], v14 offset0:8 offset1:12
	v_lshlrev_b64 v[4:5], 3, v[6:7]
	v_add_u32_e32 v6, 0x300, v8
	v_add_co_u32_e32 v4, vcc, v15, v4
	v_addc_co_u32_e32 v5, vcc, v16, v5, vcc
	s_waitcnt lgkmcnt(0)
	global_store_dwordx2 v[4:5], v[0:1], off
	v_lshlrev_b64 v[0:1], 3, v[6:7]
	v_add_u32_e32 v6, 0x400, v8
	v_add_co_u32_e32 v0, vcc, v15, v0
	v_addc_co_u32_e32 v1, vcc, v16, v1, vcc
	global_store_dwordx2 v[0:1], v[2:3], off
	ds_read2st64_b64 v[0:3], v14 offset0:16 offset1:20
	;; [unrolled: 12-line block ×5, first 2 shown]
	v_lshlrev_b64 v[4:5], 3, v[6:7]
	v_add_u32_e32 v6, 0xb00, v8
	v_add_co_u32_e32 v4, vcc, v15, v4
	v_addc_co_u32_e32 v5, vcc, v16, v5, vcc
	s_waitcnt lgkmcnt(0)
	global_store_dwordx2 v[4:5], v[0:1], off
	v_lshlrev_b64 v[0:1], 3, v[6:7]
	v_add_co_u32_e32 v0, vcc, v15, v0
	v_addc_co_u32_e32 v1, vcc, v16, v1, vcc
	global_store_dwordx2 v[0:1], v[2:3], off
.LBB0_21:
	s_endpgm
	.section	.rodata,"a",@progbits
	.p2align	6, 0x0
	.amdhsa_kernel fft_rtc_back_len3072_factors_6_4_4_4_4_2_wgs_256_tpt_256_halfLds_sp_op_CI_CI_unitstride_sbrr_C2R_dirReg
		.amdhsa_group_segment_fixed_size 0
		.amdhsa_private_segment_fixed_size 0
		.amdhsa_kernarg_size 104
		.amdhsa_user_sgpr_count 6
		.amdhsa_user_sgpr_private_segment_buffer 1
		.amdhsa_user_sgpr_dispatch_ptr 0
		.amdhsa_user_sgpr_queue_ptr 0
		.amdhsa_user_sgpr_kernarg_segment_ptr 1
		.amdhsa_user_sgpr_dispatch_id 0
		.amdhsa_user_sgpr_flat_scratch_init 0
		.amdhsa_user_sgpr_private_segment_size 0
		.amdhsa_uses_dynamic_stack 0
		.amdhsa_system_sgpr_private_segment_wavefront_offset 0
		.amdhsa_system_sgpr_workgroup_id_x 1
		.amdhsa_system_sgpr_workgroup_id_y 0
		.amdhsa_system_sgpr_workgroup_id_z 0
		.amdhsa_system_sgpr_workgroup_info 0
		.amdhsa_system_vgpr_workitem_id 0
		.amdhsa_next_free_vgpr 67
		.amdhsa_next_free_sgpr 28
		.amdhsa_reserve_vcc 1
		.amdhsa_reserve_flat_scratch 0
		.amdhsa_float_round_mode_32 0
		.amdhsa_float_round_mode_16_64 0
		.amdhsa_float_denorm_mode_32 3
		.amdhsa_float_denorm_mode_16_64 3
		.amdhsa_dx10_clamp 1
		.amdhsa_ieee_mode 1
		.amdhsa_fp16_overflow 0
		.amdhsa_exception_fp_ieee_invalid_op 0
		.amdhsa_exception_fp_denorm_src 0
		.amdhsa_exception_fp_ieee_div_zero 0
		.amdhsa_exception_fp_ieee_overflow 0
		.amdhsa_exception_fp_ieee_underflow 0
		.amdhsa_exception_fp_ieee_inexact 0
		.amdhsa_exception_int_div_zero 0
	.end_amdhsa_kernel
	.text
.Lfunc_end0:
	.size	fft_rtc_back_len3072_factors_6_4_4_4_4_2_wgs_256_tpt_256_halfLds_sp_op_CI_CI_unitstride_sbrr_C2R_dirReg, .Lfunc_end0-fft_rtc_back_len3072_factors_6_4_4_4_4_2_wgs_256_tpt_256_halfLds_sp_op_CI_CI_unitstride_sbrr_C2R_dirReg
                                        ; -- End function
	.section	.AMDGPU.csdata,"",@progbits
; Kernel info:
; codeLenInByte = 8040
; NumSgprs: 32
; NumVgprs: 67
; ScratchSize: 0
; MemoryBound: 0
; FloatMode: 240
; IeeeMode: 1
; LDSByteSize: 0 bytes/workgroup (compile time only)
; SGPRBlocks: 3
; VGPRBlocks: 16
; NumSGPRsForWavesPerEU: 32
; NumVGPRsForWavesPerEU: 67
; Occupancy: 3
; WaveLimiterHint : 1
; COMPUTE_PGM_RSRC2:SCRATCH_EN: 0
; COMPUTE_PGM_RSRC2:USER_SGPR: 6
; COMPUTE_PGM_RSRC2:TRAP_HANDLER: 0
; COMPUTE_PGM_RSRC2:TGID_X_EN: 1
; COMPUTE_PGM_RSRC2:TGID_Y_EN: 0
; COMPUTE_PGM_RSRC2:TGID_Z_EN: 0
; COMPUTE_PGM_RSRC2:TIDIG_COMP_CNT: 0
	.type	__hip_cuid_5baf3d9c7574be99,@object ; @__hip_cuid_5baf3d9c7574be99
	.section	.bss,"aw",@nobits
	.globl	__hip_cuid_5baf3d9c7574be99
__hip_cuid_5baf3d9c7574be99:
	.byte	0                               ; 0x0
	.size	__hip_cuid_5baf3d9c7574be99, 1

	.ident	"AMD clang version 19.0.0git (https://github.com/RadeonOpenCompute/llvm-project roc-6.4.0 25133 c7fe45cf4b819c5991fe208aaa96edf142730f1d)"
	.section	".note.GNU-stack","",@progbits
	.addrsig
	.addrsig_sym __hip_cuid_5baf3d9c7574be99
	.amdgpu_metadata
---
amdhsa.kernels:
  - .args:
      - .actual_access:  read_only
        .address_space:  global
        .offset:         0
        .size:           8
        .value_kind:     global_buffer
      - .offset:         8
        .size:           8
        .value_kind:     by_value
      - .actual_access:  read_only
        .address_space:  global
        .offset:         16
        .size:           8
        .value_kind:     global_buffer
      - .actual_access:  read_only
        .address_space:  global
        .offset:         24
        .size:           8
        .value_kind:     global_buffer
      - .actual_access:  read_only
        .address_space:  global
        .offset:         32
        .size:           8
        .value_kind:     global_buffer
      - .offset:         40
        .size:           8
        .value_kind:     by_value
      - .actual_access:  read_only
        .address_space:  global
        .offset:         48
        .size:           8
        .value_kind:     global_buffer
      - .actual_access:  read_only
        .address_space:  global
        .offset:         56
        .size:           8
        .value_kind:     global_buffer
      - .offset:         64
        .size:           4
        .value_kind:     by_value
      - .actual_access:  read_only
        .address_space:  global
        .offset:         72
        .size:           8
        .value_kind:     global_buffer
      - .actual_access:  read_only
        .address_space:  global
        .offset:         80
        .size:           8
        .value_kind:     global_buffer
      - .actual_access:  read_only
        .address_space:  global
        .offset:         88
        .size:           8
        .value_kind:     global_buffer
      - .actual_access:  write_only
        .address_space:  global
        .offset:         96
        .size:           8
        .value_kind:     global_buffer
    .group_segment_fixed_size: 0
    .kernarg_segment_align: 8
    .kernarg_segment_size: 104
    .language:       OpenCL C
    .language_version:
      - 2
      - 0
    .max_flat_workgroup_size: 256
    .name:           fft_rtc_back_len3072_factors_6_4_4_4_4_2_wgs_256_tpt_256_halfLds_sp_op_CI_CI_unitstride_sbrr_C2R_dirReg
    .private_segment_fixed_size: 0
    .sgpr_count:     32
    .sgpr_spill_count: 0
    .symbol:         fft_rtc_back_len3072_factors_6_4_4_4_4_2_wgs_256_tpt_256_halfLds_sp_op_CI_CI_unitstride_sbrr_C2R_dirReg.kd
    .uniform_work_group_size: 1
    .uses_dynamic_stack: false
    .vgpr_count:     67
    .vgpr_spill_count: 0
    .wavefront_size: 64
amdhsa.target:   amdgcn-amd-amdhsa--gfx906
amdhsa.version:
  - 1
  - 2
...

	.end_amdgpu_metadata
